;; amdgpu-corpus repo=ROCm/rocFFT kind=compiled arch=gfx1201 opt=O3
	.text
	.amdgcn_target "amdgcn-amd-amdhsa--gfx1201"
	.amdhsa_code_object_version 6
	.protected	fft_rtc_back_len343_factors_7_7_7_wgs_196_tpt_49_dim3_dp_ip_CI_sbcc_twdbase5_3step_dirReg_intrinsicReadWrite ; -- Begin function fft_rtc_back_len343_factors_7_7_7_wgs_196_tpt_49_dim3_dp_ip_CI_sbcc_twdbase5_3step_dirReg_intrinsicReadWrite
	.globl	fft_rtc_back_len343_factors_7_7_7_wgs_196_tpt_49_dim3_dp_ip_CI_sbcc_twdbase5_3step_dirReg_intrinsicReadWrite
	.p2align	8
	.type	fft_rtc_back_len343_factors_7_7_7_wgs_196_tpt_49_dim3_dp_ip_CI_sbcc_twdbase5_3step_dirReg_intrinsicReadWrite,@function
fft_rtc_back_len343_factors_7_7_7_wgs_196_tpt_49_dim3_dp_ip_CI_sbcc_twdbase5_3step_dirReg_intrinsicReadWrite: ; @fft_rtc_back_len343_factors_7_7_7_wgs_196_tpt_49_dim3_dp_ip_CI_sbcc_twdbase5_3step_dirReg_intrinsicReadWrite
; %bb.0:
	s_load_b128 s[4:7], s[0:1], 0x10
	s_mov_b32 s10, ttmp9
	s_mov_b32 s2, exec_lo
	v_cmpx_gt_u32_e32 0x60, v0
	s_cbranch_execz .LBB0_2
; %bb.1:
	s_load_b64 s[8:9], s[0:1], 0x8
	v_lshlrev_b32_e32 v5, 4, v0
	s_wait_kmcnt 0x0
	global_load_b128 v[1:4], v5, s[8:9]
	v_add3_u32 v5, 0, v5, 0x55c0
	s_wait_loadcnt 0x0
	ds_store_2addr_b64 v5, v[1:2], v[3:4] offset1:1
.LBB0_2:
	s_or_b32 exec_lo, exec_lo, s2
	s_wait_kmcnt 0x0
	s_load_b64 s[8:9], s[4:5], 0x8
	s_mov_b32 s11, 0
	s_mov_b64 s[16:17], 0
	s_wait_kmcnt 0x0
	s_add_nc_u64 s[2:3], s[8:9], -1
	s_delay_alu instid0(SALU_CYCLE_1) | instskip(NEXT) | instid1(SALU_CYCLE_1)
	s_lshr_b64 s[2:3], s[2:3], 2
	s_add_nc_u64 s[12:13], s[2:3], 1
	s_delay_alu instid0(SALU_CYCLE_1) | instskip(NEXT) | instid1(VALU_DEP_1)
	v_cmp_lt_u64_e64 s2, s[10:11], s[12:13]
	s_and_b32 vcc_lo, exec_lo, s2
	s_cbranch_vccnz .LBB0_4
; %bb.3:
	v_cvt_f32_u32_e32 v1, s12
	s_sub_co_i32 s3, 0, s12
	s_mov_b32 s17, s11
	s_delay_alu instid0(VALU_DEP_1) | instskip(NEXT) | instid1(TRANS32_DEP_1)
	v_rcp_iflag_f32_e32 v1, v1
	v_mul_f32_e32 v1, 0x4f7ffffe, v1
	s_delay_alu instid0(VALU_DEP_1) | instskip(NEXT) | instid1(VALU_DEP_1)
	v_cvt_u32_f32_e32 v1, v1
	v_readfirstlane_b32 s2, v1
	s_delay_alu instid0(VALU_DEP_1) | instskip(NEXT) | instid1(SALU_CYCLE_1)
	s_mul_i32 s3, s3, s2
	s_mul_hi_u32 s3, s2, s3
	s_delay_alu instid0(SALU_CYCLE_1) | instskip(NEXT) | instid1(SALU_CYCLE_1)
	s_add_co_i32 s2, s2, s3
	s_mul_hi_u32 s2, s10, s2
	s_delay_alu instid0(SALU_CYCLE_1) | instskip(SKIP_2) | instid1(SALU_CYCLE_1)
	s_mul_i32 s3, s2, s12
	s_add_co_i32 s14, s2, 1
	s_sub_co_i32 s3, s10, s3
	s_sub_co_i32 s15, s3, s12
	s_cmp_ge_u32 s3, s12
	s_cselect_b32 s2, s14, s2
	s_cselect_b32 s3, s15, s3
	s_add_co_i32 s14, s2, 1
	s_cmp_ge_u32 s3, s12
	s_cselect_b32 s16, s14, s2
.LBB0_4:
	s_load_b64 s[22:23], s[4:5], 0x10
	s_load_b64 s[14:15], s[6:7], 0x8
	s_mov_b64 s[18:19], s[16:17]
	s_wait_kmcnt 0x0
	v_cmp_lt_u64_e64 s2, s[16:17], s[22:23]
	s_delay_alu instid0(VALU_DEP_1)
	s_and_b32 vcc_lo, exec_lo, s2
	s_cbranch_vccnz .LBB0_6
; %bb.5:
	v_cvt_f32_u32_e32 v1, s22
	s_sub_co_i32 s3, 0, s22
	s_mov_b32 s19, 0
	s_delay_alu instid0(VALU_DEP_1) | instskip(NEXT) | instid1(TRANS32_DEP_1)
	v_rcp_iflag_f32_e32 v1, v1
	v_mul_f32_e32 v1, 0x4f7ffffe, v1
	s_delay_alu instid0(VALU_DEP_1) | instskip(NEXT) | instid1(VALU_DEP_1)
	v_cvt_u32_f32_e32 v1, v1
	v_readfirstlane_b32 s2, v1
	s_delay_alu instid0(VALU_DEP_1) | instskip(NEXT) | instid1(SALU_CYCLE_1)
	s_mul_i32 s3, s3, s2
	s_mul_hi_u32 s3, s2, s3
	s_delay_alu instid0(SALU_CYCLE_1) | instskip(NEXT) | instid1(SALU_CYCLE_1)
	s_add_co_i32 s2, s2, s3
	s_mul_hi_u32 s2, s16, s2
	s_delay_alu instid0(SALU_CYCLE_1) | instskip(NEXT) | instid1(SALU_CYCLE_1)
	s_mul_i32 s2, s2, s22
	s_sub_co_i32 s2, s16, s2
	s_delay_alu instid0(SALU_CYCLE_1) | instskip(SKIP_2) | instid1(SALU_CYCLE_1)
	s_sub_co_i32 s3, s2, s22
	s_cmp_ge_u32 s2, s22
	s_cselect_b32 s2, s3, s2
	s_sub_co_i32 s3, s2, s22
	s_cmp_ge_u32 s2, s22
	s_cselect_b32 s18, s3, s2
.LBB0_6:
	s_load_b64 s[2:3], s[0:1], 0x50
	s_clause 0x1
	s_load_b64 s[4:5], s[6:7], 0x0
	s_load_b64 s[20:21], s[6:7], 0x10
	s_mul_u64 s[24:25], s[22:23], s[12:13]
	s_mov_b64 s[22:23], 0
	s_wait_kmcnt 0x0
	v_cmp_lt_u64_e64 s5, s[10:11], s[24:25]
	s_delay_alu instid0(VALU_DEP_1)
	s_and_b32 vcc_lo, exec_lo, s5
	s_cbranch_vccnz .LBB0_8
; %bb.7:
	v_cvt_f32_u32_e32 v1, s24
	s_sub_co_i32 s22, 0, s24
	s_delay_alu instid0(VALU_DEP_1) | instskip(NEXT) | instid1(TRANS32_DEP_1)
	v_rcp_iflag_f32_e32 v1, v1
	v_mul_f32_e32 v1, 0x4f7ffffe, v1
	s_delay_alu instid0(VALU_DEP_1) | instskip(NEXT) | instid1(VALU_DEP_1)
	v_cvt_u32_f32_e32 v1, v1
	v_readfirstlane_b32 s5, v1
	s_wait_alu 0xfffe
	s_delay_alu instid0(VALU_DEP_1) | instskip(SKIP_4) | instid1(SALU_CYCLE_1)
	s_mul_i32 s22, s22, s5
	s_wait_alu 0xfffe
	s_mul_hi_u32 s22, s5, s22
	s_wait_alu 0xfffe
	s_add_co_i32 s5, s5, s22
	s_mul_hi_u32 s5, s10, s5
	s_delay_alu instid0(SALU_CYCLE_1)
	s_mul_i32 s22, s5, s24
	s_add_co_i32 s23, s5, 1
	s_wait_alu 0xfffe
	s_sub_co_i32 s22, s10, s22
	s_wait_alu 0xfffe
	s_sub_co_i32 s25, s22, s24
	s_cmp_ge_u32 s22, s24
	s_cselect_b32 s5, s23, s5
	s_wait_alu 0xfffe
	s_cselect_b32 s22, s25, s22
	s_add_co_i32 s25, s5, 1
	s_wait_alu 0xfffe
	s_cmp_ge_u32 s22, s24
	s_mov_b32 s23, 0
	s_cselect_b32 s22, s25, s5
.LBB0_8:
	v_dual_mov_b32 v7, 0 :: v_dual_and_b32 v34, 3, v0
	s_load_b64 s[6:7], s[6:7], 0x18
	s_mul_u64 s[12:13], s[16:17], s[12:13]
	s_mul_u64 s[16:17], s[20:21], s[18:19]
	s_delay_alu instid0(VALU_DEP_1)
	v_mad_co_u64_u32 v[29:30], null, s14, v34, 0
	s_wait_alu 0xfffe
	s_sub_nc_u64 s[10:11], s[10:11], s[12:13]
	v_mov_b32_e32 v8, 0
	s_wait_alu 0xfffe
	s_lshl_b64 s[10:11], s[10:11], 2
	v_lshrrev_b32_e32 v33, 2, v0
	s_wait_alu 0xfffe
	v_or_b32_e32 v31, s10, v34
	s_mul_u64 s[12:13], s[14:15], s[10:11]
	v_dual_mov_b32 v1, v30 :: v_dual_mov_b32 v32, s11
	v_mov_b32_e32 v3, v7
	s_add_nc_u64 s[10:11], s[10:11], 4
	v_mov_b32_e32 v4, v8
	s_wait_alu 0xfffe
	v_cmp_le_u64_e64 s5, s[10:11], s[8:9]
	v_cmp_gt_u64_e32 vcc_lo, s[8:9], v[31:32]
	v_mad_co_u64_u32 v[1:2], null, s15, v34, v[1:2]
	v_dual_mov_b32 v1, v7 :: v_dual_mov_b32 v2, v8
	s_add_nc_u64 s[12:13], s[16:17], s[12:13]
	s_wait_kmcnt 0x0
	s_mul_u64 s[6:7], s[6:7], s[22:23]
	s_or_b32 s5, s5, vcc_lo
	s_wait_alu 0xfffe
	s_add_nc_u64 s[6:7], s[6:7], s[12:13]
	s_and_saveexec_b32 s7, s5
	s_cbranch_execz .LBB0_10
; %bb.9:
	v_mul_lo_u32 v1, s4, v33
	v_mov_b32_e32 v2, 0
	s_delay_alu instid0(VALU_DEP_2) | instskip(NEXT) | instid1(VALU_DEP_1)
	v_add3_u32 v1, s6, v29, v1
	v_lshlrev_b64_e32 v[1:2], 4, v[1:2]
	s_delay_alu instid0(VALU_DEP_1) | instskip(NEXT) | instid1(VALU_DEP_2)
	v_add_co_u32 v1, vcc_lo, s2, v1
	v_add_co_ci_u32_e32 v2, vcc_lo, s3, v2, vcc_lo
	global_load_b128 v[1:4], v[1:2], off
.LBB0_10:
	s_or_b32 exec_lo, exec_lo, s7
	v_dual_mov_b32 v5, v7 :: v_dual_mov_b32 v6, v8
	s_and_saveexec_b32 s7, s5
	s_cbranch_execz .LBB0_12
; %bb.11:
	v_dual_mov_b32 v6, 0 :: v_dual_add_nc_u32 v5, 49, v33
	s_delay_alu instid0(VALU_DEP_1) | instskip(NEXT) | instid1(VALU_DEP_1)
	v_mul_lo_u32 v5, s4, v5
	v_add3_u32 v5, s6, v29, v5
	s_delay_alu instid0(VALU_DEP_1) | instskip(NEXT) | instid1(VALU_DEP_1)
	v_lshlrev_b64_e32 v[5:6], 4, v[5:6]
	v_add_co_u32 v5, vcc_lo, s2, v5
	s_wait_alu 0xfffd
	s_delay_alu instid0(VALU_DEP_2)
	v_add_co_ci_u32_e32 v6, vcc_lo, s3, v6, vcc_lo
	global_load_b128 v[5:8], v[5:6], off
.LBB0_12:
	s_wait_alu 0xfffe
	s_or_b32 exec_lo, exec_lo, s7
	v_mov_b32_e32 v11, 0
	v_mov_b32_e32 v12, 0
	s_delay_alu instid0(VALU_DEP_1)
	v_dual_mov_b32 v16, v12 :: v_dual_mov_b32 v15, v11
	v_dual_mov_b32 v14, v12 :: v_dual_mov_b32 v13, v11
	s_and_saveexec_b32 s7, s5
	s_cbranch_execz .LBB0_14
; %bb.13:
	v_dual_mov_b32 v10, 0 :: v_dual_add_nc_u32 v9, 0x62, v33
	s_delay_alu instid0(VALU_DEP_1) | instskip(NEXT) | instid1(VALU_DEP_1)
	v_mul_lo_u32 v9, s4, v9
	v_add3_u32 v9, s6, v29, v9
	s_delay_alu instid0(VALU_DEP_1) | instskip(NEXT) | instid1(VALU_DEP_1)
	v_lshlrev_b64_e32 v[9:10], 4, v[9:10]
	v_add_co_u32 v9, vcc_lo, s2, v9
	s_wait_alu 0xfffd
	s_delay_alu instid0(VALU_DEP_2)
	v_add_co_ci_u32_e32 v10, vcc_lo, s3, v10, vcc_lo
	global_load_b128 v[13:16], v[9:10], off
.LBB0_14:
	s_wait_alu 0xfffe
	s_or_b32 exec_lo, exec_lo, s7
	v_dual_mov_b32 v9, v11 :: v_dual_mov_b32 v10, v12
	s_and_saveexec_b32 s7, s5
	s_cbranch_execz .LBB0_16
; %bb.15:
	v_dual_mov_b32 v10, 0 :: v_dual_add_nc_u32 v9, 0x93, v33
	s_delay_alu instid0(VALU_DEP_1) | instskip(NEXT) | instid1(VALU_DEP_1)
	v_mul_lo_u32 v9, s4, v9
	v_add3_u32 v9, s6, v29, v9
	s_delay_alu instid0(VALU_DEP_1) | instskip(NEXT) | instid1(VALU_DEP_1)
	v_lshlrev_b64_e32 v[9:10], 4, v[9:10]
	v_add_co_u32 v9, vcc_lo, s2, v9
	s_wait_alu 0xfffd
	s_delay_alu instid0(VALU_DEP_2)
	v_add_co_ci_u32_e32 v10, vcc_lo, s3, v10, vcc_lo
	global_load_b128 v[9:12], v[9:10], off
.LBB0_16:
	s_wait_alu 0xfffe
	s_or_b32 exec_lo, exec_lo, s7
	v_mov_b32_e32 v23, 0
	v_mov_b32_e32 v24, 0
	s_delay_alu instid0(VALU_DEP_2) | instskip(NEXT) | instid1(VALU_DEP_2)
	v_mov_b32_e32 v19, v23
	v_dual_mov_b32 v17, v23 :: v_dual_mov_b32 v18, v24
	v_mov_b32_e32 v20, v24
	s_and_saveexec_b32 s7, s5
	s_cbranch_execz .LBB0_18
; %bb.17:
	v_dual_mov_b32 v18, 0 :: v_dual_add_nc_u32 v17, 0xc4, v33
	s_delay_alu instid0(VALU_DEP_1) | instskip(NEXT) | instid1(VALU_DEP_1)
	v_mul_lo_u32 v17, s4, v17
	v_add3_u32 v17, s6, v29, v17
	s_delay_alu instid0(VALU_DEP_1) | instskip(NEXT) | instid1(VALU_DEP_1)
	v_lshlrev_b64_e32 v[17:18], 4, v[17:18]
	v_add_co_u32 v17, vcc_lo, s2, v17
	s_wait_alu 0xfffd
	s_delay_alu instid0(VALU_DEP_2)
	v_add_co_ci_u32_e32 v18, vcc_lo, s3, v18, vcc_lo
	global_load_b128 v[17:20], v[17:18], off
.LBB0_18:
	s_wait_alu 0xfffe
	s_or_b32 exec_lo, exec_lo, s7
	s_load_b64 s[26:27], s[0:1], 0x0
	v_dual_mov_b32 v21, v23 :: v_dual_mov_b32 v22, v24
	s_and_saveexec_b32 s0, s5
	s_cbranch_execz .LBB0_20
; %bb.19:
	v_dual_mov_b32 v22, 0 :: v_dual_add_nc_u32 v21, 0xf5, v33
	s_delay_alu instid0(VALU_DEP_1) | instskip(NEXT) | instid1(VALU_DEP_1)
	v_mul_lo_u32 v21, s4, v21
	v_add3_u32 v21, s6, v29, v21
	s_delay_alu instid0(VALU_DEP_1) | instskip(NEXT) | instid1(VALU_DEP_1)
	v_lshlrev_b64_e32 v[21:22], 4, v[21:22]
	v_add_co_u32 v21, vcc_lo, s2, v21
	s_wait_alu 0xfffd
	s_delay_alu instid0(VALU_DEP_2)
	v_add_co_ci_u32_e32 v22, vcc_lo, s3, v22, vcc_lo
	global_load_b128 v[21:24], v[21:22], off
.LBB0_20:
	s_or_b32 exec_lo, exec_lo, s0
	v_mov_b32_e32 v27, 0
	v_mov_b32_e32 v28, 0
	s_delay_alu instid0(VALU_DEP_1)
	v_dual_mov_b32 v25, v27 :: v_dual_mov_b32 v26, v28
	s_and_saveexec_b32 s0, s5
	s_cbranch_execz .LBB0_22
; %bb.21:
	v_dual_mov_b32 v26, 0 :: v_dual_add_nc_u32 v25, 0x126, v33
	s_delay_alu instid0(VALU_DEP_1) | instskip(NEXT) | instid1(VALU_DEP_1)
	v_mul_lo_u32 v25, s4, v25
	v_add3_u32 v25, s6, v29, v25
	s_delay_alu instid0(VALU_DEP_1) | instskip(NEXT) | instid1(VALU_DEP_1)
	v_lshlrev_b64_e32 v[25:26], 4, v[25:26]
	v_add_co_u32 v25, vcc_lo, s2, v25
	s_wait_alu 0xfffd
	s_delay_alu instid0(VALU_DEP_2)
	v_add_co_ci_u32_e32 v26, vcc_lo, s3, v26, vcc_lo
	global_load_b128 v[25:28], v[25:26], off
.LBB0_22:
	s_or_b32 exec_lo, exec_lo, s0
	s_wait_loadcnt 0x0
	v_add_f64_e32 v[35:36], v[5:6], v[25:26]
	v_add_f64_e32 v[37:38], v[7:8], v[27:28]
	;; [unrolled: 1-line block ×4, first 2 shown]
	v_add_f64_e64 v[13:14], v[13:14], -v[21:22]
	v_add_f64_e64 v[15:16], v[15:16], -v[23:24]
	v_add_f64_e32 v[21:22], v[9:10], v[17:18]
	v_add_f64_e32 v[23:24], v[11:12], v[19:20]
	v_add_f64_e64 v[9:10], v[17:18], -v[9:10]
	v_add_f64_e64 v[11:12], v[19:20], -v[11:12]
	;; [unrolled: 1-line block ×4, first 2 shown]
	s_mov_b32 s0, 0x37e14327
	s_mov_b32 s14, 0xe976ee23
	;; [unrolled: 1-line block ×16, first 2 shown]
	s_wait_alu 0xfffe
	s_mov_b32 s18, s16
	s_mov_b32 s24, s20
	;; [unrolled: 1-line block ×4, first 2 shown]
	v_mul_lo_u16 v30, v33, 37
	v_mul_u32_u24_e32 v32, 0x1c0, v33
	v_lshlrev_b32_e32 v68, 4, v34
	s_delay_alu instid0(VALU_DEP_3) | instskip(NEXT) | instid1(VALU_DEP_2)
	v_lshrrev_b16 v30, 8, v30
	v_add3_u32 v32, 0, v32, v68
	v_add_f64_e32 v[17:18], v[39:40], v[35:36]
	v_add_f64_e32 v[19:20], v[41:42], v[37:38]
	s_delay_alu instid0(VALU_DEP_4)
	v_mul_lo_u16 v30, v30, 7
	v_add_f64_e64 v[25:26], v[35:36], -v[21:22]
	v_add_f64_e64 v[27:28], v[37:38], -v[23:24]
	;; [unrolled: 1-line block ×6, first 2 shown]
	v_add_f64_e32 v[13:14], v[9:10], v[13:14]
	v_add_f64_e32 v[15:16], v[11:12], v[15:16]
	v_add_f64_e64 v[9:10], v[5:6], -v[9:10]
	v_add_f64_e64 v[11:12], v[7:8], -v[11:12]
	;; [unrolled: 1-line block ×4, first 2 shown]
	v_sub_nc_u16 v30, v33, v30
	s_delay_alu instid0(VALU_DEP_1) | instskip(NEXT) | instid1(VALU_DEP_1)
	v_and_b32_e32 v30, 0xff, v30
	v_mul_u32_u24_e32 v34, 6, v30
	s_delay_alu instid0(VALU_DEP_1)
	v_lshlrev_b32_e32 v34, 4, v34
	v_add_f64_e32 v[17:18], v[21:22], v[17:18]
	v_add_f64_e32 v[19:20], v[23:24], v[19:20]
	v_add_f64_e64 v[21:22], v[21:22], -v[39:40]
	v_add_f64_e64 v[23:24], v[23:24], -v[41:42]
	v_mul_f64_e32 v[25:26], s[0:1], v[25:26]
	v_mul_f64_e32 v[27:28], s[0:1], v[27:28]
	;; [unrolled: 1-line block ×6, first 2 shown]
	v_add_f64_e32 v[5:6], v[13:14], v[5:6]
	v_add_f64_e32 v[7:8], v[15:16], v[7:8]
	;; [unrolled: 1-line block ×4, first 2 shown]
	v_mul_f64_e32 v[39:40], s[8:9], v[21:22]
	v_mul_f64_e32 v[41:42], s[8:9], v[23:24]
	v_fma_f64 v[13:14], v[21:22], s[8:9], v[25:26]
	v_fma_f64 v[15:16], v[23:24], s[8:9], v[27:28]
	;; [unrolled: 1-line block ×4, first 2 shown]
	v_fma_f64 v[43:44], v[47:48], s[10:11], -v[43:44]
	v_fma_f64 v[45:46], v[49:50], s[10:11], -v[45:46]
	s_wait_alu 0xfffe
	v_fma_f64 v[9:10], v[9:10], s[24:25], -v[51:52]
	v_fma_f64 v[11:12], v[11:12], s[24:25], -v[53:54]
	;; [unrolled: 1-line block ×4, first 2 shown]
	v_fma_f64 v[17:18], v[17:18], s[12:13], v[1:2]
	v_fma_f64 v[19:20], v[19:20], s[12:13], v[3:4]
	v_fma_f64 v[35:36], v[35:36], s[16:17], -v[39:40]
	v_fma_f64 v[37:38], v[37:38], s[16:17], -v[41:42]
	v_fma_f64 v[39:40], v[5:6], s[22:23], v[21:22]
	v_fma_f64 v[41:42], v[7:8], s[22:23], v[23:24]
	;; [unrolled: 1-line block ×6, first 2 shown]
	v_add_f64_e32 v[47:48], v[13:14], v[17:18]
	v_add_f64_e32 v[49:50], v[15:16], v[19:20]
	;; [unrolled: 1-line block ×7, first 2 shown]
	v_add_f64_e64 v[7:8], v[49:50], -v[39:40]
	v_add_f64_e32 v[9:10], v[45:46], v[25:26]
	v_add_f64_e64 v[11:12], v[27:28], -v[43:44]
	v_add_f64_e64 v[13:14], v[17:18], -v[23:24]
	v_add_f64_e32 v[15:16], v[21:22], v[19:20]
	v_add_f64_e32 v[17:18], v[23:24], v[17:18]
	v_add_f64_e64 v[19:20], v[19:20], -v[21:22]
	v_add_f64_e64 v[21:22], v[25:26], -v[45:46]
	v_add_f64_e32 v[23:24], v[43:44], v[27:28]
	v_add_f64_e64 v[25:26], v[47:48], -v[41:42]
	v_add_f64_e32 v[27:28], v[39:40], v[49:50]
	ds_store_b128 v32, v[1:4]
	ds_store_b128 v32, v[5:8] offset:64
	ds_store_b128 v32, v[9:12] offset:128
	;; [unrolled: 1-line block ×6, first 2 shown]
	global_wb scope:SCOPE_SE
	s_wait_dscnt 0x0
	s_wait_kmcnt 0x0
	s_barrier_signal -1
	s_barrier_wait -1
	global_inv scope:SCOPE_SE
	s_clause 0x5
	global_load_b128 v[1:4], v34, s[26:27]
	global_load_b128 v[5:8], v34, s[26:27] offset:16
	global_load_b128 v[9:12], v34, s[26:27] offset:80
	;; [unrolled: 1-line block ×5, first 2 shown]
	v_mad_i32_i24 v25, 0xfffffe80, v33, v32
	ds_load_b128 v[34:37], v25 offset:3136
	ds_load_b128 v[38:41], v25 offset:6272
	;; [unrolled: 1-line block ×6, first 2 shown]
	s_wait_loadcnt_dscnt 0x505
	v_mul_f64_e32 v[26:27], v[36:37], v[3:4]
	v_mul_f64_e32 v[3:4], v[34:35], v[3:4]
	s_wait_loadcnt_dscnt 0x404
	v_mul_f64_e32 v[58:59], v[40:41], v[7:8]
	v_mul_f64_e32 v[7:8], v[38:39], v[7:8]
	;; [unrolled: 3-line block ×6, first 2 shown]
	v_fma_f64 v[26:27], v[34:35], v[1:2], v[26:27]
	v_fma_f64 v[1:2], v[36:37], v[1:2], -v[3:4]
	v_fma_f64 v[3:4], v[38:39], v[5:6], v[58:59]
	v_fma_f64 v[5:6], v[40:41], v[5:6], -v[7:8]
	;; [unrolled: 2-line block ×6, first 2 shown]
	v_add_f64_e32 v[23:24], v[26:27], v[7:8]
	v_add_f64_e32 v[34:35], v[1:2], v[9:10]
	;; [unrolled: 1-line block ×4, first 2 shown]
	v_add_f64_e64 v[11:12], v[3:4], -v[11:12]
	v_add_f64_e64 v[5:6], v[5:6], -v[13:14]
	v_add_f64_e32 v[3:4], v[15:16], v[19:20]
	v_add_f64_e32 v[13:14], v[17:18], v[21:22]
	v_add_f64_e64 v[15:16], v[19:20], -v[15:16]
	v_add_f64_e64 v[17:18], v[21:22], -v[17:18]
	;; [unrolled: 1-line block ×4, first 2 shown]
	v_add_f64_e32 v[1:2], v[36:37], v[23:24]
	v_add_f64_e32 v[19:20], v[38:39], v[34:35]
	v_add_f64_e64 v[21:22], v[23:24], -v[3:4]
	v_add_f64_e64 v[26:27], v[34:35], -v[13:14]
	v_add_f64_e64 v[40:41], v[15:16], -v[11:12]
	v_add_f64_e64 v[42:43], v[17:18], -v[5:6]
	v_add_f64_e64 v[46:47], v[5:6], -v[9:10]
	v_add_f64_e64 v[44:45], v[11:12], -v[7:8]
	v_add_f64_e64 v[50:51], v[3:4], -v[36:37]
	v_add_f64_e32 v[11:12], v[15:16], v[11:12]
	v_add_f64_e32 v[5:6], v[17:18], v[5:6]
	v_add_f64_e64 v[15:16], v[7:8], -v[15:16]
	v_add_f64_e64 v[17:18], v[9:10], -v[17:18]
	;; [unrolled: 1-line block ×4, first 2 shown]
	v_add_f64_e32 v[48:49], v[3:4], v[1:2]
	v_add_f64_e32 v[19:20], v[13:14], v[19:20]
	v_add_f64_e64 v[13:14], v[13:14], -v[38:39]
	ds_load_b128 v[1:4], v25
	v_mul_f64_e32 v[21:22], s[0:1], v[21:22]
	v_mul_f64_e32 v[26:27], s[0:1], v[26:27]
	;; [unrolled: 1-line block ×7, first 2 shown]
	v_add_f64_e32 v[7:8], v[11:12], v[7:8]
	v_add_f64_e32 v[5:6], v[5:6], v[9:10]
	global_wb scope:SCOPE_SE
	s_wait_dscnt 0x0
	s_barrier_signal -1
	s_barrier_wait -1
	global_inv scope:SCOPE_SE
	v_add_f64_e32 v[1:2], v[1:2], v[48:49]
	v_add_f64_e32 v[3:4], v[3:4], v[19:20]
	v_mul_f64_e32 v[38:39], s[8:9], v[13:14]
	v_fma_f64 v[9:10], v[50:51], s[8:9], v[21:22]
	v_fma_f64 v[11:12], v[13:14], s[8:9], v[26:27]
	;; [unrolled: 1-line block ×4, first 2 shown]
	v_fma_f64 v[40:41], v[44:45], s[10:11], -v[40:41]
	v_fma_f64 v[15:16], v[15:16], s[24:25], -v[52:53]
	;; [unrolled: 1-line block ×7, first 2 shown]
	v_fma_f64 v[44:45], v[48:49], s[12:13], v[1:2]
	v_fma_f64 v[19:20], v[19:20], s[12:13], v[3:4]
	v_fma_f64 v[34:35], v[34:35], s[16:17], -v[38:39]
	v_fma_f64 v[36:37], v[7:8], s[22:23], v[13:14]
	v_fma_f64 v[38:39], v[5:6], s[22:23], v[50:51]
	;; [unrolled: 1-line block ×6, first 2 shown]
	v_add_f64_e32 v[50:51], v[9:10], v[44:45]
	v_add_f64_e32 v[52:53], v[11:12], v[19:20]
	;; [unrolled: 1-line block ×7, first 2 shown]
	v_add_f64_e64 v[7:8], v[52:53], -v[36:37]
	v_add_f64_e32 v[9:10], v[48:49], v[21:22]
	v_add_f64_e64 v[11:12], v[26:27], -v[46:47]
	v_add_f64_e64 v[13:14], v[17:18], -v[42:43]
	v_add_f64_e32 v[15:16], v[40:41], v[19:20]
	v_add_f64_e32 v[17:18], v[42:43], v[17:18]
	v_add_f64_e64 v[19:20], v[19:20], -v[40:41]
	v_add_f64_e64 v[21:22], v[21:22], -v[48:49]
	v_add_f64_e32 v[23:24], v[46:47], v[26:27]
	v_add_f64_e64 v[34:35], v[50:51], -v[38:39]
	v_add_f64_e32 v[36:37], v[36:37], v[52:53]
	v_mul_u32_u24_e32 v26, 0x925, v0
	s_delay_alu instid0(VALU_DEP_1) | instskip(NEXT) | instid1(VALU_DEP_1)
	v_lshrrev_b32_e32 v26, 16, v26
	v_mul_lo_u16 v26, v26, 49
	s_delay_alu instid0(VALU_DEP_1) | instskip(NEXT) | instid1(VALU_DEP_1)
	v_and_b32_e32 v26, 0xffff, v26
	v_add_lshl_u32 v26, v26, v30, 6
	s_delay_alu instid0(VALU_DEP_1)
	v_add3_u32 v26, 0, v26, v68
	ds_store_b128 v26, v[1:4]
	ds_store_b128 v26, v[5:8] offset:448
	ds_store_b128 v26, v[9:12] offset:896
	ds_store_b128 v26, v[13:16] offset:1344
	ds_store_b128 v26, v[17:20] offset:1792
	ds_store_b128 v26, v[21:24] offset:2240
	ds_store_b128 v26, v[34:37] offset:2688
	global_wb scope:SCOPE_SE
	s_wait_dscnt 0x0
	s_barrier_signal -1
	s_barrier_wait -1
	global_inv scope:SCOPE_SE
	s_and_saveexec_b32 s7, s5
	s_cbranch_execz .LBB0_24
; %bb.23:
	v_mul_lo_u16 v1, v33, 21
	s_add_co_i32 s5, 0, 0x55c0
	v_mul_lo_u32 v89, 0xffffffcf, v31
	v_and_b32_e32 v0, 0xffff, v0
	s_delay_alu instid0(VALU_DEP_3) | instskip(NEXT) | instid1(VALU_DEP_2)
	v_lshrrev_b16 v1, 10, v1
	v_mul_u32_u24_e32 v0, 0x14f, v0
	s_delay_alu instid0(VALU_DEP_2) | instskip(NEXT) | instid1(VALU_DEP_2)
	v_mul_lo_u16 v1, v1, 49
	v_lshrrev_b32_e32 v0, 16, v0
	s_delay_alu instid0(VALU_DEP_2) | instskip(NEXT) | instid1(VALU_DEP_2)
	v_sub_nc_u16 v1, v33, v1
	v_mul_lo_u16 v0, 0x157, v0
	s_delay_alu instid0(VALU_DEP_2) | instskip(NEXT) | instid1(VALU_DEP_1)
	v_and_b32_e32 v26, 0xff, v1
	v_mul_u32_u24_e32 v1, 6, v26
	v_mul_lo_u32 v88, v26, v31
	v_add_nc_u32_e32 v30, 0x126, v26
	s_delay_alu instid0(VALU_DEP_3)
	v_lshlrev_b32_e32 v13, 4, v1
	s_clause 0x5
	global_load_b128 v[9:12], v13, s[26:27] offset:704
	global_load_b128 v[1:4], v13, s[26:27] offset:720
	global_load_b128 v[5:8], v13, s[26:27] offset:688
	global_load_b128 v[21:24], v13, s[26:27] offset:736
	global_load_b128 v[17:20], v13, s[26:27] offset:672
	global_load_b128 v[13:16], v13, s[26:27] offset:752
	v_lshrrev_b32_e32 v27, 1, v88
	v_and_b32_e32 v28, 31, v88
	v_mul_lo_u32 v90, v30, v31
	s_delay_alu instid0(VALU_DEP_3) | instskip(NEXT) | instid1(VALU_DEP_3)
	v_and_b32_e32 v27, 0x1f0, v27
	v_lshl_add_u32 v28, v28, 4, 0
	s_wait_alu 0xfffe
	s_delay_alu instid0(VALU_DEP_2)
	v_add_nc_u32_e32 v27, s5, v27
	ds_load_b128 v[32:35], v28 offset:21952
	ds_load_b128 v[36:39], v27 offset:512
	v_lshrrev_b32_e32 v27, 1, v90
	v_and_b32_e32 v28, 31, v90
	v_add_nc_u32_e32 v48, v90, v89
	s_delay_alu instid0(VALU_DEP_3) | instskip(NEXT) | instid1(VALU_DEP_3)
	v_and_b32_e32 v27, 0x1f0, v27
	v_lshl_add_u32 v28, v28, 4, 0
	s_delay_alu instid0(VALU_DEP_3)
	v_lshrrev_b32_e32 v49, 6, v48
	v_lshrrev_b32_e32 v50, 1, v48
	v_add_nc_u32_e32 v92, v48, v89
	v_add_nc_u32_e32 v27, s5, v27
	ds_load_b128 v[40:43], v28 offset:21952
	ds_load_b128 v[44:47], v27 offset:512
	v_add_nc_u32_e32 v91, v92, v89
	s_wait_dscnt 0x2
	v_mul_f64_e32 v[27:28], v[34:35], v[38:39]
	v_mul_f64_e32 v[30:31], v[32:33], v[38:39]
	v_and_b32_e32 v38, 31, v48
	v_and_b32_e32 v48, 0x1f0, v49
	;; [unrolled: 1-line block ×4, first 2 shown]
	v_lshrrev_b32_e32 v39, 1, v92
	v_lshl_add_u32 v38, v38, 4, 0
	v_add_nc_u32_e32 v56, s5, v48
	v_add_nc_u32_e32 v52, s5, v49
	v_lshl_add_u32 v60, v50, 4, 0
	ds_load_b128 v[48:51], v38 offset:21952
	ds_load_b128 v[52:55], v52 offset:512
	v_and_b32_e32 v39, 0x1f0, v39
	v_lshrrev_b32_e32 v69, 6, v91
	v_lshrrev_b32_e32 v68, 1, v91
	v_and_b32_e32 v70, 31, v91
	s_delay_alu instid0(VALU_DEP_4)
	v_add_nc_u32_e32 v39, s5, v39
	ds_load_b128 v[56:59], v56 offset:1024
	ds_load_b128 v[60:63], v60 offset:21952
	;; [unrolled: 1-line block ×3, first 2 shown]
	s_wait_dscnt 0x5
	v_mul_f64_e32 v[38:39], v[42:43], v[46:47]
	v_mul_f64_e32 v[46:47], v[40:41], v[46:47]
	v_and_b32_e32 v69, 0x1f0, v69
	v_and_b32_e32 v68, 0x1f0, v68
	v_lshl_add_u32 v70, v70, 4, 0
	s_delay_alu instid0(VALU_DEP_3) | instskip(NEXT) | instid1(VALU_DEP_3)
	v_add_nc_u32_e32 v80, s5, v69
	v_add_nc_u32_e32 v72, s5, v68
	ds_load_b128 v[68:71], v70 offset:21952
	ds_load_b128 v[72:75], v72 offset:512
	s_wait_dscnt 0x5
	v_mul_f64_e32 v[76:77], v[50:51], v[54:55]
	v_mul_f64_e32 v[54:55], v[48:49], v[54:55]
	v_fma_f64 v[27:28], v[32:33], v[36:37], -v[27:28]
	v_fma_f64 v[78:79], v[36:37], v[34:35], v[30:31]
	ds_load_b128 v[30:33], v80 offset:1024
	ds_load_b128 v[34:37], v25 offset:9408
	s_wait_dscnt 0x2
	v_mul_f64_e32 v[82:83], v[70:71], v[74:75]
	v_mul_f64_e32 v[74:75], v[68:69], v[74:75]
	v_fma_f64 v[84:85], v[40:41], v[44:45], -v[38:39]
	ds_load_b128 v[38:41], v25 offset:6272
	v_fma_f64 v[86:87], v[42:43], v[44:45], v[46:47]
	ds_load_b128 v[42:45], v25 offset:12544
	v_fma_f64 v[76:77], v[48:49], v[52:53], -v[76:77]
	ds_load_b128 v[46:49], v25 offset:15680
	v_mul_f64_e32 v[80:81], v[62:63], v[66:67]
	v_mul_f64_e32 v[66:67], v[60:61], v[66:67]
	v_fma_f64 v[50:51], v[50:51], v[52:53], v[54:55]
	s_delay_alu instid0(VALU_DEP_3) | instskip(NEXT) | instid1(VALU_DEP_3)
	v_fma_f64 v[52:53], v[60:61], v[64:65], -v[80:81]
	v_fma_f64 v[54:55], v[62:63], v[64:65], v[66:67]
	v_fma_f64 v[62:63], v[68:69], v[72:73], -v[82:83]
	v_fma_f64 v[64:65], v[70:71], v[72:73], v[74:75]
	s_wait_loadcnt_dscnt 0x503
	v_mul_f64_e32 v[60:61], v[36:37], v[11:12]
	v_mul_f64_e32 v[11:12], v[34:35], v[11:12]
	s_wait_loadcnt_dscnt 0x302
	v_mul_f64_e32 v[68:69], v[40:41], v[7:8]
	v_mul_f64_e32 v[70:71], v[38:39], v[7:8]
	s_delay_alu instid0(VALU_DEP_4) | instskip(NEXT) | instid1(VALU_DEP_4)
	v_fma_f64 v[60:61], v[34:35], v[9:10], v[60:61]
	v_fma_f64 v[72:73], v[36:37], v[9:10], -v[11:12]
	ds_load_b128 v[7:10], v25 offset:3136
	s_wait_dscnt 0x2
	v_mul_f64_e32 v[66:67], v[44:45], v[3:4]
	v_mul_f64_e32 v[3:4], v[42:43], v[3:4]
	s_wait_loadcnt_dscnt 0x201
	v_mul_f64_e32 v[11:12], v[48:49], v[23:24]
	v_mul_f64_e32 v[23:24], v[46:47], v[23:24]
	v_fma_f64 v[68:69], v[38:39], v[5:6], v[68:69]
	v_fma_f64 v[70:71], v[40:41], v[5:6], -v[70:71]
	s_wait_loadcnt_dscnt 0x100
	v_mul_f64_e32 v[5:6], v[7:8], v[19:20]
	v_fma_f64 v[42:43], v[42:43], v[1:2], v[66:67]
	v_fma_f64 v[44:45], v[44:45], v[1:2], -v[3:4]
	ds_load_b128 v[1:4], v25 offset:18816
	ds_load_b128 v[34:37], v25
	v_add_nc_u32_e32 v25, v91, v89
	v_mul_f64_e32 v[66:67], v[9:10], v[19:20]
	v_fma_f64 v[46:47], v[46:47], v[21:22], v[11:12]
	v_fma_f64 v[23:24], v[48:49], v[21:22], -v[23:24]
	s_delay_alu instid0(VALU_DEP_4) | instskip(NEXT) | instid1(VALU_DEP_1)
	v_and_b32_e32 v19, 31, v25
	v_lshl_add_u32 v12, v19, 4, 0
	s_wait_loadcnt_dscnt 0x1
	v_mul_f64_e32 v[74:75], v[3:4], v[15:16]
	v_mul_f64_e32 v[80:81], v[1:2], v[15:16]
	v_lshrrev_b32_e32 v15, 1, v25
	v_add_nc_u32_e32 v16, v25, v89
	v_lshrrev_b32_e32 v25, 6, v25
	s_delay_alu instid0(VALU_DEP_3) | instskip(NEXT) | instid1(VALU_DEP_3)
	v_and_b32_e32 v15, 0x1f0, v15
	v_lshrrev_b32_e32 v20, 1, v16
	v_and_b32_e32 v11, 31, v16
	v_lshrrev_b32_e32 v16, 6, v16
	v_and_b32_e32 v25, 0x1f0, v25
	v_add_nc_u32_e32 v15, s5, v15
	v_and_b32_e32 v38, 0x1f0, v20
	ds_load_b128 v[19:22], v12 offset:21952
	v_lshl_add_u32 v11, v11, 4, 0
	v_add_nc_u32_e32 v12, s5, v38
	ds_load_b128 v[38:41], v15 offset:512
	v_and_b32_e32 v15, 0x1f0, v16
	v_fma_f64 v[48:49], v[7:8], v[17:18], v[66:67]
	v_fma_f64 v[66:67], v[9:10], v[17:18], -v[5:6]
	ds_load_b128 v[5:8], v11 offset:21952
	ds_load_b128 v[9:12], v12 offset:512
	v_add_nc_u32_e32 v15, s5, v15
	ds_load_b128 v[15:18], v15 offset:1024
	v_fma_f64 v[74:75], v[1:2], v[13:14], v[74:75]
	v_fma_f64 v[13:14], v[3:4], v[13:14], -v[80:81]
	s_wait_dscnt 0x3
	v_mul_f64_e32 v[1:2], v[21:22], v[40:41]
	v_mul_f64_e32 v[3:4], v[19:20], v[40:41]
	v_lshrrev_b32_e32 v80, 6, v88
	s_wait_dscnt 0x1
	v_mul_f64_e32 v[40:41], v[7:8], v[11:12]
	v_mul_f64_e32 v[11:12], v[5:6], v[11:12]
	s_delay_alu instid0(VALU_DEP_3) | instskip(NEXT) | instid1(VALU_DEP_1)
	v_and_b32_e32 v80, 0x1f0, v80
	v_add_nc_u32_e32 v80, s5, v80
	v_fma_f64 v[19:20], v[19:20], v[38:39], -v[1:2]
	v_fma_f64 v[21:22], v[21:22], v[38:39], v[3:4]
	ds_load_b128 v[1:4], v80 offset:1024
	v_fma_f64 v[38:39], v[5:6], v[9:10], -v[40:41]
	v_fma_f64 v[9:10], v[7:8], v[9:10], v[11:12]
	v_add_f64_e32 v[5:6], v[70:71], v[23:24]
	v_add_f64_e32 v[7:8], v[66:67], v[13:14]
	;; [unrolled: 1-line block ×4, first 2 shown]
	v_add_f64_e64 v[46:47], v[68:69], -v[46:47]
	v_add_f64_e64 v[48:49], v[48:49], -v[74:75]
	;; [unrolled: 1-line block ×6, first 2 shown]
	v_add_f64_e32 v[42:43], v[60:61], v[42:43]
	v_add_f64_e32 v[44:45], v[72:73], v[44:45]
	s_wait_dscnt 0x0
	v_mul_f64_e32 v[80:81], v[3:4], v[78:79]
	v_mul_f64_e32 v[3:4], v[3:4], v[27:28]
	v_add_f64_e32 v[60:61], v[5:6], v[7:8]
	v_add_f64_e32 v[70:71], v[11:12], v[40:41]
	v_add_f64_e64 v[72:73], v[46:47], -v[48:49]
	v_add_f64_e64 v[74:75], v[68:69], -v[46:47]
	v_add_f64_e32 v[46:47], v[68:69], v[46:47]
	v_add_f64_e64 v[68:69], v[48:49], -v[68:69]
	v_add_f64_e64 v[82:83], v[42:43], -v[11:12]
	;; [unrolled: 1-line block ×3, first 2 shown]
	v_fma_f64 v[27:28], v[1:2], v[27:28], -v[80:81]
	v_fma_f64 v[78:79], v[1:2], v[78:79], v[3:4]
	v_add_f64_e64 v[1:2], v[66:67], -v[23:24]
	v_add_f64_e64 v[3:4], v[40:41], -v[42:43]
	;; [unrolled: 1-line block ×3, first 2 shown]
	v_add_f64_e32 v[23:24], v[66:67], v[23:24]
	v_add_f64_e64 v[66:67], v[13:14], -v[66:67]
	v_add_f64_e32 v[60:61], v[44:45], v[60:61]
	v_add_f64_e32 v[42:43], v[42:43], v[70:71]
	v_add_f64_e64 v[70:71], v[44:45], -v[5:6]
	v_add_f64_e64 v[44:45], v[7:8], -v[44:45]
	;; [unrolled: 1-line block ×3, first 2 shown]
	v_mul_f64_e32 v[7:8], s[10:11], v[72:73]
	v_mul_f64_e32 v[74:75], s[14:15], v[74:75]
	v_add_f64_e32 v[46:47], v[46:47], v[48:49]
	v_mul_f64_e32 v[48:49], s[8:9], v[82:83]
	v_mul_f64_e32 v[88:89], s[14:15], v[1:2]
	v_lshrrev_b32_e32 v1, 6, v90
	v_mul_f64_e32 v[90:91], s[0:1], v[3:4]
	v_mul_f64_e32 v[40:41], s[10:11], v[80:81]
	v_add_f64_e32 v[13:14], v[23:24], v[13:14]
	s_delay_alu instid0(VALU_DEP_4) | instskip(NEXT) | instid1(VALU_DEP_1)
	v_and_b32_e32 v1, 0x1f0, v1
	v_add_nc_u32_e32 v1, s5, v1
	ds_load_b128 v[1:4], v1 offset:1024
	v_add_f64_e32 v[23:24], v[36:37], v[60:61]
	v_add_f64_e32 v[34:35], v[34:35], v[42:43]
	v_mul_f64_e32 v[44:45], s[0:1], v[44:45]
	v_fma_f64 v[36:37], v[68:69], s[24:25], -v[7:8]
	v_fma_f64 v[68:69], v[68:69], s[20:21], v[74:75]
	v_fma_f64 v[72:73], v[72:73], s[10:11], -v[74:75]
	s_wait_dscnt 0x0
	v_mul_f64_e32 v[7:8], v[86:87], v[3:4]
	v_mul_f64_e32 v[3:4], v[84:85], v[3:4]
	v_fma_f64 v[74:75], v[80:81], s[10:11], -v[88:89]
	v_mul_f64_e32 v[80:81], s[8:9], v[70:71]
	v_fma_f64 v[82:83], v[82:83], s[8:9], v[90:91]
	v_fma_f64 v[40:41], v[66:67], s[24:25], -v[40:41]
	v_fma_f64 v[66:67], v[66:67], s[20:21], v[88:89]
	v_fma_f64 v[88:89], v[11:12], s[18:19], -v[90:91]
	v_fma_f64 v[11:12], v[11:12], s[16:17], -v[48:49]
	v_lshrrev_b32_e32 v48, 6, v92
	s_delay_alu instid0(VALU_DEP_1) | instskip(NEXT) | instid1(VALU_DEP_1)
	v_and_b32_e32 v48, 0x1f0, v48
	v_add_nc_u32_e32 v90, s5, v48
	v_fma_f64 v[60:61], v[60:61], s[12:13], v[23:24]
	v_fma_f64 v[42:43], v[42:43], s[12:13], v[34:35]
	;; [unrolled: 1-line block ×5, first 2 shown]
	v_mul_f64_e32 v[72:73], v[62:63], v[32:33]
	v_mul_f64_e32 v[32:33], v[64:65], v[32:33]
	v_fma_f64 v[48:49], v[5:6], s[16:17], -v[80:81]
	v_fma_f64 v[80:81], v[1:2], v[84:85], -v[7:8]
	v_fma_f64 v[84:85], v[1:2], v[86:87], v[3:4]
	v_fma_f64 v[86:87], v[5:6], s[18:19], -v[44:45]
	v_fma_f64 v[44:45], v[70:71], s[8:9], v[44:45]
	v_add_nc_u32_e32 v5, s5, v25
	ds_load_b128 v[1:4], v90 offset:1024
	v_fma_f64 v[66:67], v[13:14], s[22:23], v[66:67]
	v_fma_f64 v[40:41], v[13:14], s[22:23], v[40:41]
	;; [unrolled: 1-line block ×3, first 2 shown]
	ds_load_b128 v[5:8], v5 offset:1024
	v_mul_f64_e32 v[70:71], v[76:77], v[58:59]
	v_mul_f64_e32 v[58:59], v[50:51], v[58:59]
	v_add_f64_e32 v[82:83], v[82:83], v[42:43]
	v_add_f64_e32 v[88:89], v[88:89], v[42:43]
	;; [unrolled: 1-line block ×3, first 2 shown]
	v_mul_f64_e32 v[42:43], v[38:39], v[17:18]
	v_mul_f64_e32 v[17:18], v[9:10], v[17:18]
	s_wait_dscnt 0x1
	v_mul_f64_e32 v[90:91], v[52:53], v[3:4]
	v_mul_f64_e32 v[3:4], v[54:55], v[3:4]
	s_wait_dscnt 0x0
	v_mul_f64_e32 v[74:75], v[19:20], v[7:8]
	v_mul_f64_e32 v[7:8], v[21:22], v[7:8]
	v_add_f64_e32 v[48:49], v[48:49], v[60:61]
	v_add_f64_e32 v[86:87], v[86:87], v[60:61]
	v_add_f64_e32 v[44:45], v[44:45], v[60:61]
	v_fma_f64 v[60:61], v[30:31], v[64:65], v[72:73]
	v_fma_f64 v[50:51], v[56:57], v[50:51], v[70:71]
	v_fma_f64 v[56:57], v[56:57], v[76:77], -v[58:59]
	v_add_f64_e64 v[72:73], v[82:83], -v[66:67]
	v_add_f64_e32 v[66:67], v[66:67], v[82:83]
	v_add_f64_e64 v[70:71], v[88:89], -v[40:41]
	v_fma_f64 v[9:10], v[15:16], v[9:10], v[42:43]
	v_add_f64_e32 v[40:41], v[40:41], v[88:89]
	v_fma_f64 v[54:55], v[1:2], v[54:55], v[90:91]
	v_fma_f64 v[52:53], v[1:2], v[52:53], -v[3:4]
	v_fma_f64 v[16:17], v[15:16], v[38:39], -v[17:18]
	v_fma_f64 v[21:22], v[5:6], v[21:22], v[74:75]
	v_fma_f64 v[4:5], v[5:6], v[19:20], -v[7:8]
	v_mul_f64_e32 v[6:7], v[23:24], v[78:79]
	v_add_f64_e64 v[42:43], v[48:49], -v[46:47]
	v_add_f64_e32 v[46:47], v[46:47], v[48:49]
	v_add_f64_e32 v[48:49], v[13:14], v[11:12]
	;; [unrolled: 1-line block ×3, first 2 shown]
	v_add_f64_e64 v[74:75], v[44:45], -v[68:69]
	v_add_f64_e64 v[36:37], v[86:87], -v[36:37]
	;; [unrolled: 1-line block ×3, first 2 shown]
	v_add_f64_e32 v[44:45], v[68:69], v[44:45]
	v_and_b32_e32 v11, 0xffff, v0
	v_add_nc_u32_e32 v0, s6, v29
	v_fma_f64 v[29:30], v[30:31], v[62:63], -v[32:33]
	s_delay_alu instid0(VALU_DEP_3) | instskip(NEXT) | instid1(VALU_DEP_1)
	v_add_nc_u32_e32 v11, v11, v26
	v_mad_co_u64_u32 v[25:26], null, s4, v11, v[0:1]
	v_mul_f64_e32 v[1:2], v[34:35], v[78:79]
	v_mul_f64_e32 v[14:15], v[72:73], v[84:85]
	v_add_nc_u32_e32 v82, 49, v11
	v_mul_f64_e32 v[18:19], v[70:71], v[50:51]
	v_mul_f64_e32 v[62:63], v[9:10], v[66:67]
	v_mov_b32_e32 v26, 0
	v_add_nc_u32_e32 v76, 0x62, v11
	v_add_nc_u32_e32 v83, 0x93, v11
	;; [unrolled: 1-line block ×4, first 2 shown]
	v_mul_f64_e32 v[58:59], v[40:41], v[21:22]
	v_add_nc_u32_e32 v3, 0x126, v11
	v_lshlrev_b64_e32 v[88:89], 4, v[25:26]
	v_mul_f64_e32 v[31:32], v[48:49], v[54:55]
	v_mul_f64_e32 v[54:55], v[42:43], v[54:55]
	;; [unrolled: 1-line block ×8, first 2 shown]
	v_mad_co_u64_u32 v[10:11], null, s4, v82, v[0:1]
	v_mov_b32_e32 v11, v26
	v_mad_co_u64_u32 v[76:77], null, s4, v76, v[0:1]
	v_mad_co_u64_u32 v[78:79], null, s4, v83, v[0:1]
	;; [unrolled: 1-line block ×5, first 2 shown]
	v_fma_f64 v[2:3], v[23:24], v[27:28], -v[1:2]
	v_fma_f64 v[0:1], v[34:35], v[27:28], v[6:7]
	v_mov_b32_e32 v77, v26
	v_mov_b32_e32 v79, v26
	;; [unrolled: 1-line block ×5, first 2 shown]
	v_fma_f64 v[26:27], v[16:17], v[74:75], -v[62:63]
	v_fma_f64 v[22:23], v[36:37], v[4:5], -v[58:59]
	v_fma_f64 v[24:25], v[16:17], v[66:67], v[8:9]
	v_fma_f64 v[20:21], v[40:41], v[4:5], v[20:21]
	v_lshlrev_b64_e32 v[90:91], 4, v[10:11]
	v_fma_f64 v[10:11], v[64:65], v[56:57], -v[18:19]
	v_fma_f64 v[18:19], v[46:47], v[29:30], -v[38:39]
	v_fma_f64 v[16:17], v[12:13], v[29:30], v[60:61]
	v_fma_f64 v[6:7], v[44:45], v[80:81], -v[14:15]
	v_fma_f64 v[14:15], v[42:43], v[52:53], -v[31:32]
	v_fma_f64 v[12:13], v[48:49], v[52:53], v[54:55]
	v_fma_f64 v[8:9], v[70:71], v[56:57], v[50:51]
	;; [unrolled: 1-line block ×3, first 2 shown]
	v_lshlrev_b64_e32 v[76:77], 4, v[76:77]
	v_add_co_u32 v34, vcc_lo, s2, v88
	s_wait_alu 0xfffd
	v_add_co_ci_u32_e32 v35, vcc_lo, s3, v89, vcc_lo
	v_lshlrev_b64_e32 v[78:79], 4, v[78:79]
	v_add_co_u32 v36, vcc_lo, s2, v90
	s_wait_alu 0xfffd
	v_add_co_ci_u32_e32 v37, vcc_lo, s3, v91, vcc_lo
	;; [unrolled: 4-line block ×5, first 2 shown]
	v_add_co_u32 v30, vcc_lo, s2, v30
	s_wait_alu 0xfffd
	v_add_co_ci_u32_e32 v31, vcc_lo, s3, v31, vcc_lo
	v_add_co_u32 v32, vcc_lo, s2, v32
	s_wait_alu 0xfffd
	v_add_co_ci_u32_e32 v33, vcc_lo, s3, v33, vcc_lo
	s_clause 0x6
	global_store_b128 v[34:35], v[0:3], off
	global_store_b128 v[36:37], v[24:27], off
	;; [unrolled: 1-line block ×7, first 2 shown]
.LBB0_24:
	s_nop 0
	s_sendmsg sendmsg(MSG_DEALLOC_VGPRS)
	s_endpgm
	.section	.rodata,"a",@progbits
	.p2align	6, 0x0
	.amdhsa_kernel fft_rtc_back_len343_factors_7_7_7_wgs_196_tpt_49_dim3_dp_ip_CI_sbcc_twdbase5_3step_dirReg_intrinsicReadWrite
		.amdhsa_group_segment_fixed_size 0
		.amdhsa_private_segment_fixed_size 0
		.amdhsa_kernarg_size 88
		.amdhsa_user_sgpr_count 2
		.amdhsa_user_sgpr_dispatch_ptr 0
		.amdhsa_user_sgpr_queue_ptr 0
		.amdhsa_user_sgpr_kernarg_segment_ptr 1
		.amdhsa_user_sgpr_dispatch_id 0
		.amdhsa_user_sgpr_private_segment_size 0
		.amdhsa_wavefront_size32 1
		.amdhsa_uses_dynamic_stack 0
		.amdhsa_enable_private_segment 0
		.amdhsa_system_sgpr_workgroup_id_x 1
		.amdhsa_system_sgpr_workgroup_id_y 0
		.amdhsa_system_sgpr_workgroup_id_z 0
		.amdhsa_system_sgpr_workgroup_info 0
		.amdhsa_system_vgpr_workitem_id 0
		.amdhsa_next_free_vgpr 93
		.amdhsa_next_free_sgpr 28
		.amdhsa_reserve_vcc 1
		.amdhsa_float_round_mode_32 0
		.amdhsa_float_round_mode_16_64 0
		.amdhsa_float_denorm_mode_32 3
		.amdhsa_float_denorm_mode_16_64 3
		.amdhsa_fp16_overflow 0
		.amdhsa_workgroup_processor_mode 1
		.amdhsa_memory_ordered 1
		.amdhsa_forward_progress 0
		.amdhsa_round_robin_scheduling 0
		.amdhsa_exception_fp_ieee_invalid_op 0
		.amdhsa_exception_fp_denorm_src 0
		.amdhsa_exception_fp_ieee_div_zero 0
		.amdhsa_exception_fp_ieee_overflow 0
		.amdhsa_exception_fp_ieee_underflow 0
		.amdhsa_exception_fp_ieee_inexact 0
		.amdhsa_exception_int_div_zero 0
	.end_amdhsa_kernel
	.text
.Lfunc_end0:
	.size	fft_rtc_back_len343_factors_7_7_7_wgs_196_tpt_49_dim3_dp_ip_CI_sbcc_twdbase5_3step_dirReg_intrinsicReadWrite, .Lfunc_end0-fft_rtc_back_len343_factors_7_7_7_wgs_196_tpt_49_dim3_dp_ip_CI_sbcc_twdbase5_3step_dirReg_intrinsicReadWrite
                                        ; -- End function
	.section	.AMDGPU.csdata,"",@progbits
; Kernel info:
; codeLenInByte = 5696
; NumSgprs: 30
; NumVgprs: 93
; ScratchSize: 0
; MemoryBound: 0
; FloatMode: 240
; IeeeMode: 1
; LDSByteSize: 0 bytes/workgroup (compile time only)
; SGPRBlocks: 3
; VGPRBlocks: 11
; NumSGPRsForWavesPerEU: 30
; NumVGPRsForWavesPerEU: 93
; Occupancy: 16
; WaveLimiterHint : 1
; COMPUTE_PGM_RSRC2:SCRATCH_EN: 0
; COMPUTE_PGM_RSRC2:USER_SGPR: 2
; COMPUTE_PGM_RSRC2:TRAP_HANDLER: 0
; COMPUTE_PGM_RSRC2:TGID_X_EN: 1
; COMPUTE_PGM_RSRC2:TGID_Y_EN: 0
; COMPUTE_PGM_RSRC2:TGID_Z_EN: 0
; COMPUTE_PGM_RSRC2:TIDIG_COMP_CNT: 0
	.text
	.p2alignl 7, 3214868480
	.fill 96, 4, 3214868480
	.type	__hip_cuid_bd38dd89c05202f1,@object ; @__hip_cuid_bd38dd89c05202f1
	.section	.bss,"aw",@nobits
	.globl	__hip_cuid_bd38dd89c05202f1
__hip_cuid_bd38dd89c05202f1:
	.byte	0                               ; 0x0
	.size	__hip_cuid_bd38dd89c05202f1, 1

	.ident	"AMD clang version 19.0.0git (https://github.com/RadeonOpenCompute/llvm-project roc-6.4.0 25133 c7fe45cf4b819c5991fe208aaa96edf142730f1d)"
	.section	".note.GNU-stack","",@progbits
	.addrsig
	.addrsig_sym __hip_cuid_bd38dd89c05202f1
	.amdgpu_metadata
---
amdhsa.kernels:
  - .args:
      - .actual_access:  read_only
        .address_space:  global
        .offset:         0
        .size:           8
        .value_kind:     global_buffer
      - .address_space:  global
        .offset:         8
        .size:           8
        .value_kind:     global_buffer
      - .actual_access:  read_only
        .address_space:  global
        .offset:         16
        .size:           8
        .value_kind:     global_buffer
      - .actual_access:  read_only
        .address_space:  global
        .offset:         24
        .size:           8
        .value_kind:     global_buffer
      - .offset:         32
        .size:           8
        .value_kind:     by_value
      - .actual_access:  read_only
        .address_space:  global
        .offset:         40
        .size:           8
        .value_kind:     global_buffer
      - .actual_access:  read_only
        .address_space:  global
        .offset:         48
        .size:           8
        .value_kind:     global_buffer
      - .offset:         56
        .size:           4
        .value_kind:     by_value
      - .actual_access:  read_only
        .address_space:  global
        .offset:         64
        .size:           8
        .value_kind:     global_buffer
      - .actual_access:  read_only
        .address_space:  global
        .offset:         72
        .size:           8
        .value_kind:     global_buffer
      - .address_space:  global
        .offset:         80
        .size:           8
        .value_kind:     global_buffer
    .group_segment_fixed_size: 0
    .kernarg_segment_align: 8
    .kernarg_segment_size: 88
    .language:       OpenCL C
    .language_version:
      - 2
      - 0
    .max_flat_workgroup_size: 196
    .name:           fft_rtc_back_len343_factors_7_7_7_wgs_196_tpt_49_dim3_dp_ip_CI_sbcc_twdbase5_3step_dirReg_intrinsicReadWrite
    .private_segment_fixed_size: 0
    .sgpr_count:     30
    .sgpr_spill_count: 0
    .symbol:         fft_rtc_back_len343_factors_7_7_7_wgs_196_tpt_49_dim3_dp_ip_CI_sbcc_twdbase5_3step_dirReg_intrinsicReadWrite.kd
    .uniform_work_group_size: 1
    .uses_dynamic_stack: false
    .vgpr_count:     93
    .vgpr_spill_count: 0
    .wavefront_size: 32
    .workgroup_processor_mode: 1
amdhsa.target:   amdgcn-amd-amdhsa--gfx1201
amdhsa.version:
  - 1
  - 2
...

	.end_amdgpu_metadata
